;; amdgpu-corpus repo=ROCm/rocFFT kind=compiled arch=gfx906 opt=O3
	.text
	.amdgcn_target "amdgcn-amd-amdhsa--gfx906"
	.amdhsa_code_object_version 6
	.protected	bluestein_single_fwd_len588_dim1_sp_op_CI_CI ; -- Begin function bluestein_single_fwd_len588_dim1_sp_op_CI_CI
	.globl	bluestein_single_fwd_len588_dim1_sp_op_CI_CI
	.p2align	8
	.type	bluestein_single_fwd_len588_dim1_sp_op_CI_CI,@function
bluestein_single_fwd_len588_dim1_sp_op_CI_CI: ; @bluestein_single_fwd_len588_dim1_sp_op_CI_CI
; %bb.0:
	v_mul_u32_u24_e32 v1, 0x30d, v0
	s_load_dwordx4 s[8:11], s[4:5], 0x28
	v_lshrrev_b32_e32 v1, 16, v1
	v_mad_u64_u32 v[56:57], s[0:1], s6, 3, v[1:2]
	v_mov_b32_e32 v57, 0
	s_waitcnt lgkmcnt(0)
	v_cmp_gt_u64_e32 vcc, s[8:9], v[56:57]
	s_and_saveexec_b64 s[0:1], vcc
	s_cbranch_execz .LBB0_18
; %bb.1:
	s_load_dwordx4 s[0:3], s[4:5], 0x18
	s_load_dwordx4 s[12:15], s[4:5], 0x0
	v_mul_lo_u16_e32 v1, 0x54, v1
	v_sub_u16_e32 v72, v0, v1
	v_lshlrev_b32_e32 v41, 3, v72
	s_waitcnt lgkmcnt(0)
	s_load_dwordx4 s[16:19], s[0:1], 0x0
	global_load_dwordx2 v[63:64], v41, s[12:13]
	s_load_dwordx2 s[4:5], s[4:5], 0x38
	s_waitcnt lgkmcnt(0)
	v_mad_u64_u32 v[0:1], s[0:1], s18, v56, 0
	v_mad_u64_u32 v[2:3], s[0:1], s16, v72, 0
	;; [unrolled: 1-line block ×4, first 2 shown]
	v_mov_b32_e32 v1, v4
	v_lshlrev_b64 v[0:1], 3, v[0:1]
	v_mov_b32_e32 v6, s11
	v_mov_b32_e32 v3, v5
	v_add_co_u32_e32 v4, vcc, s10, v0
	v_addc_co_u32_e32 v5, vcc, v6, v1, vcc
	v_lshlrev_b64 v[0:1], 3, v[2:3]
	s_mul_i32 s0, s17, 0x2a0
	v_add_co_u32_e32 v0, vcc, v4, v0
	s_mul_hi_u32 s1, s16, 0x2a0
	v_addc_co_u32_e32 v1, vcc, v5, v1, vcc
	s_add_i32 s0, s1, s0
	s_mul_i32 s1, s16, 0x2a0
	global_load_dwordx2 v[2:3], v[0:1], off
	v_mov_b32_e32 v4, s0
	v_add_co_u32_e32 v0, vcc, s1, v0
	v_addc_co_u32_e32 v1, vcc, v1, v4, vcc
	v_mov_b32_e32 v5, s0
	v_add_co_u32_e32 v4, vcc, s1, v0
	v_addc_co_u32_e32 v5, vcc, v1, v5, vcc
	global_load_dwordx2 v[6:7], v[0:1], off
	global_load_dwordx2 v[8:9], v[4:5], off
	v_mov_b32_e32 v1, s0
	v_add_co_u32_e32 v0, vcc, s1, v4
	v_addc_co_u32_e32 v1, vcc, v5, v1, vcc
	v_mov_b32_e32 v5, s0
	v_add_co_u32_e32 v4, vcc, s1, v0
	v_addc_co_u32_e32 v5, vcc, v1, v5, vcc
	global_load_dwordx2 v[65:66], v41, s[12:13] offset:672
	global_load_dwordx2 v[61:62], v41, s[12:13] offset:1344
	;; [unrolled: 1-line block ×3, first 2 shown]
	global_load_dwordx2 v[10:11], v[0:1], off
	global_load_dwordx2 v[12:13], v[4:5], off
	global_load_dwordx2 v[57:58], v41, s[12:13] offset:2688
	v_mov_b32_e32 v1, s0
	v_add_co_u32_e32 v0, vcc, s1, v4
	v_addc_co_u32_e32 v1, vcc, v5, v1, vcc
	global_load_dwordx2 v[4:5], v[0:1], off
	global_load_dwordx2 v[54:55], v41, s[12:13] offset:3360
	v_mov_b32_e32 v14, s0
	v_add_co_u32_e32 v0, vcc, s1, v0
	v_addc_co_u32_e32 v1, vcc, v1, v14, vcc
	global_load_dwordx2 v[52:53], v41, s[12:13] offset:4032
	global_load_dwordx2 v[14:15], v[0:1], off
	s_mov_b32 s0, 0xaaaaaaab
	v_mul_hi_u32 v0, v56, s0
	s_load_dwordx4 s[8:11], s[2:3], 0x0
	s_mov_b32 s1, 0x3f3bfb3b
	s_mov_b32 s0, 0x3f5ff5aa
	v_lshrrev_b32_e32 v0, 1, v0
	v_lshl_add_u32 v0, v0, 1, v0
	v_sub_u32_e32 v0, v56, v0
	v_mul_u32_u24_e32 v0, 0x24c, v0
	v_lshlrev_b32_e32 v73, 3, v0
	v_add_u32_e32 v71, v41, v73
	v_add_u32_e32 v18, 0x800, v71
	v_cmp_gt_u16_e32 vcc, 28, v72
	s_waitcnt vmcnt(12)
	v_mul_f32_e32 v0, v3, v64
	v_mul_f32_e32 v1, v2, v64
	v_fmac_f32_e32 v0, v2, v63
	v_fma_f32 v1, v3, v63, -v1
	s_waitcnt vmcnt(9)
	v_mul_f32_e32 v2, v7, v66
	v_mul_f32_e32 v3, v6, v66
	v_fmac_f32_e32 v2, v6, v65
	v_fma_f32 v3, v7, v65, -v3
	s_waitcnt vmcnt(8)
	v_mul_f32_e32 v6, v9, v62
	v_mul_f32_e32 v7, v8, v62
	ds_write2_b64 v71, v[0:1], v[2:3] offset1:84
	s_waitcnt vmcnt(6)
	v_mul_f32_e32 v0, v11, v60
	v_mul_f32_e32 v1, v10, v60
	v_fmac_f32_e32 v6, v8, v61
	v_fma_f32 v7, v9, v61, -v7
	v_fmac_f32_e32 v0, v10, v59
	v_fma_f32 v1, v11, v59, -v1
	s_waitcnt vmcnt(4)
	v_mul_f32_e32 v2, v13, v58
	v_mul_f32_e32 v3, v12, v58
	ds_write2_b64 v71, v[6:7], v[0:1] offset0:168 offset1:252
	s_waitcnt vmcnt(2)
	v_mul_f32_e32 v0, v5, v55
	v_mul_f32_e32 v1, v4, v55
	v_fmac_f32_e32 v2, v12, v57
	v_fma_f32 v3, v13, v57, -v3
	v_fmac_f32_e32 v0, v4, v54
	v_fma_f32 v1, v5, v54, -v1
	ds_write2_b64 v18, v[2:3], v[0:1] offset0:80 offset1:164
	s_waitcnt vmcnt(0)
	v_mul_f32_e32 v0, v15, v53
	v_mul_f32_e32 v1, v14, v53
	v_fmac_f32_e32 v0, v14, v52
	v_fma_f32 v1, v15, v52, -v1
	ds_write_b64 v71, v[0:1] offset:4032
	s_waitcnt lgkmcnt(0)
	s_barrier
	ds_read2_b64 v[0:3], v71 offset1:84
	ds_read_b64 v[12:13], v71 offset:4032
	ds_read2_b64 v[4:7], v71 offset0:168 offset1:252
	ds_read2_b64 v[8:11], v18 offset0:80 offset1:164
	s_waitcnt lgkmcnt(0)
	s_barrier
	v_add_f32_e32 v14, v2, v12
	v_sub_f32_e32 v2, v2, v12
	v_add_f32_e32 v12, v4, v10
	v_add_f32_e32 v15, v3, v13
	v_sub_f32_e32 v3, v3, v13
	v_add_f32_e32 v13, v5, v11
	v_sub_f32_e32 v4, v4, v10
	;; [unrolled: 2-line block ×5, first 2 shown]
	v_add_f32_e32 v9, v13, v15
	v_add_f32_e32 v19, v6, v4
	;; [unrolled: 1-line block ×3, first 2 shown]
	v_sub_f32_e32 v16, v12, v14
	v_sub_f32_e32 v14, v14, v10
	;; [unrolled: 1-line block ×3, first 2 shown]
	v_add_f32_e32 v20, v7, v5
	v_sub_f32_e32 v21, v6, v4
	v_sub_f32_e32 v6, v2, v6
	;; [unrolled: 1-line block ×3, first 2 shown]
	v_add_f32_e32 v9, v11, v9
	v_add_f32_e32 v10, v19, v2
	;; [unrolled: 1-line block ×3, first 2 shown]
	v_sub_f32_e32 v17, v13, v15
	v_sub_f32_e32 v15, v15, v11
	;; [unrolled: 1-line block ×6, first 2 shown]
	v_add_f32_e32 v11, v20, v3
	v_add_f32_e32 v3, v1, v9
	v_mov_b32_e32 v23, v2
	v_mul_f32_e32 v0, 0x3f4a47b2, v14
	v_mul_f32_e32 v1, 0x3f4a47b2, v15
	;; [unrolled: 1-line block ×4, first 2 shown]
	v_fmac_f32_e32 v23, 0xbf955555, v8
	v_mov_b32_e32 v8, v3
	v_mul_f32_e32 v19, 0xbf08b237, v21
	v_mul_f32_e32 v20, 0xbf08b237, v22
	v_fmac_f32_e32 v8, 0xbf955555, v9
	v_fma_f32 v9, v16, s1, -v14
	v_fma_f32 v14, v17, s1, -v15
	s_mov_b32 s1, 0xbf3bfb3b
	v_mul_f32_e32 v21, 0x3f5ff5aa, v4
	v_mul_f32_e32 v22, 0x3f5ff5aa, v5
	v_fma_f32 v15, v16, s1, -v0
	v_fmac_f32_e32 v0, 0x3d64c772, v12
	v_fma_f32 v12, v17, s1, -v1
	v_fmac_f32_e32 v1, 0x3d64c772, v13
	v_fma_f32 v13, v4, s0, -v19
	v_fma_f32 v16, v5, s0, -v20
	s_mov_b32 s0, 0xbeae86e6
	v_fmac_f32_e32 v19, 0x3eae86e6, v6
	v_fmac_f32_e32 v20, 0x3eae86e6, v7
	v_fma_f32 v17, v6, s0, -v21
	v_fma_f32 v21, v7, s0, -v22
	v_add_f32_e32 v14, v14, v8
	v_fmac_f32_e32 v13, 0x3ee1c552, v10
	v_add_f32_e32 v0, v0, v23
	v_add_f32_e32 v1, v1, v8
	;; [unrolled: 1-line block ×3, first 2 shown]
	v_fmac_f32_e32 v19, 0x3ee1c552, v10
	v_fmac_f32_e32 v20, 0x3ee1c552, v11
	;; [unrolled: 1-line block ×4, first 2 shown]
	v_add_f32_e32 v9, v13, v14
	v_sub_f32_e32 v11, v14, v13
	v_mul_lo_u16_e32 v14, 7, v72
	v_add_f32_e32 v15, v15, v23
	v_add_f32_e32 v23, v12, v8
	v_fmac_f32_e32 v17, 0x3ee1c552, v10
	v_add_f32_e32 v4, v0, v20
	v_sub_f32_e32 v5, v1, v19
	v_lshl_add_u32 v40, v14, 3, v73
	v_add_f32_e32 v6, v21, v15
	v_sub_f32_e32 v7, v23, v17
	v_sub_f32_e32 v8, v22, v16
	v_add_f32_e32 v10, v16, v22
	v_sub_f32_e32 v12, v15, v21
	v_add_f32_e32 v13, v17, v23
	v_sub_f32_e32 v0, v0, v20
	v_add_f32_e32 v1, v19, v1
	ds_write2_b64 v40, v[2:3], v[4:5] offset1:1
	ds_write2_b64 v40, v[6:7], v[8:9] offset0:2 offset1:3
	ds_write2_b64 v40, v[10:11], v[12:13] offset0:4 offset1:5
	ds_write_b64 v40, v[0:1] offset:48
	v_add_u32_e32 v2, 0x400, v71
	s_waitcnt lgkmcnt(0)
	s_barrier
	ds_read2_b64 v[24:27], v71 offset1:84
	ds_read2_b64 v[14:17], v2 offset0:68 offset1:152
	ds_read2_b64 v[10:13], v18 offset0:136 offset1:220
                                        ; implicit-def: $vgpr18
	s_and_saveexec_b64 s[0:1], vcc
	s_cbranch_execz .LBB0_3
; %bb.2:
	ds_read2_b64 v[0:3], v2 offset0:40 offset1:236
	ds_read_b64 v[18:19], v71 offset:4480
.LBB0_3:
	s_or_b64 exec, exec, s[0:1]
	v_mov_b32_e32 v20, 37
	v_mul_lo_u16_sdwa v4, v72, v20 dst_sel:DWORD dst_unused:UNUSED_PAD src0_sel:BYTE_0 src1_sel:DWORD
	v_sub_u16_sdwa v5, v72, v4 dst_sel:DWORD dst_unused:UNUSED_PAD src0_sel:DWORD src1_sel:BYTE_1
	v_lshrrev_b16_e32 v5, 1, v5
	v_and_b32_e32 v5, 0x7f, v5
	v_add_u16_sdwa v4, v5, v4 dst_sel:DWORD dst_unused:UNUSED_PAD src0_sel:DWORD src1_sel:BYTE_1
	v_lshrrev_b16_e32 v22, 2, v4
	v_mul_lo_u16_e32 v4, 7, v22
	v_sub_u16_e32 v23, v72, v4
	v_mov_b32_e32 v21, 4
	v_lshlrev_b32_sdwa v4, v21, v23 dst_sel:DWORD dst_unused:UNUSED_PAD src0_sel:DWORD src1_sel:BYTE_0
	global_load_dwordx4 v[4:7], v4, s[14:15]
	v_add_u16_e32 v42, 0x54, v72
	v_mul_u32_u24_e32 v22, 21, v22
	v_add_u32_sdwa v22, v22, v23 dst_sel:DWORD dst_unused:UNUSED_PAD src0_sel:DWORD src1_sel:BYTE_0
	v_lshl_add_u32 v78, v22, 3, v73
	s_waitcnt vmcnt(0) lgkmcnt(1)
	v_mul_f32_e32 v8, v15, v5
	v_fma_f32 v28, v14, v4, -v8
	s_waitcnt lgkmcnt(0)
	v_mul_f32_e32 v8, v11, v7
	v_fma_f32 v30, v10, v6, -v8
	v_mul_lo_u16_sdwa v8, v42, v20 dst_sel:DWORD dst_unused:UNUSED_PAD src0_sel:BYTE_0 src1_sel:DWORD
	v_sub_u16_sdwa v9, v42, v8 dst_sel:DWORD dst_unused:UNUSED_PAD src0_sel:DWORD src1_sel:BYTE_1
	v_lshrrev_b16_e32 v9, 1, v9
	v_and_b32_e32 v9, 0x7f, v9
	v_add_u16_sdwa v8, v9, v8 dst_sel:DWORD dst_unused:UNUSED_PAD src0_sel:DWORD src1_sel:BYTE_1
	v_lshrrev_b16_e32 v32, 2, v8
	v_mul_lo_u16_e32 v8, 7, v32
	v_sub_u16_e32 v33, v42, v8
	v_mul_f32_e32 v31, v10, v7
	v_lshlrev_b32_sdwa v8, v21, v33 dst_sel:DWORD dst_unused:UNUSED_PAD src0_sel:DWORD src1_sel:BYTE_0
	v_fmac_f32_e32 v31, v11, v6
	global_load_dwordx4 v[8:11], v8, s[14:15]
	v_mul_f32_e32 v29, v14, v5
	v_fmac_f32_e32 v29, v15, v4
	s_waitcnt vmcnt(0)
	v_mul_f32_e32 v14, v17, v9
	v_fma_f32 v34, v16, v8, -v14
	v_mul_f32_e32 v14, v13, v11
	v_fma_f32 v36, v12, v10, -v14
	v_mul_f32_e32 v37, v12, v11
	v_add_u16_e32 v12, 0xa8, v72
	v_fmac_f32_e32 v37, v13, v10
	v_mul_lo_u16_sdwa v13, v12, v20 dst_sel:DWORD dst_unused:UNUSED_PAD src0_sel:BYTE_0 src1_sel:DWORD
	v_sub_u16_sdwa v14, v12, v13 dst_sel:DWORD dst_unused:UNUSED_PAD src0_sel:DWORD src1_sel:BYTE_1
	v_lshrrev_b16_e32 v14, 1, v14
	v_and_b32_e32 v14, 0x7f, v14
	v_add_u16_sdwa v13, v14, v13 dst_sel:DWORD dst_unused:UNUSED_PAD src0_sel:DWORD src1_sel:BYTE_1
	v_lshrrev_b16_e32 v74, 2, v13
	v_mul_lo_u16_e32 v13, 7, v74
	v_sub_u16_e32 v75, v12, v13
	v_lshlrev_b32_sdwa v12, v21, v75 dst_sel:DWORD dst_unused:UNUSED_PAD src0_sel:DWORD src1_sel:BYTE_0
	global_load_dwordx4 v[12:15], v12, s[14:15]
	v_mul_f32_e32 v35, v16, v9
	v_fmac_f32_e32 v35, v17, v8
	v_add_f32_e32 v17, v29, v31
	v_fma_f32 v17, -0.5, v17, v25
	v_sub_f32_e32 v20, v28, v30
	v_add_f32_e32 v21, v34, v36
	s_waitcnt vmcnt(0)
	s_barrier
	v_mul_f32_e32 v39, v2, v13
	v_mul_f32_e32 v16, v3, v13
	v_fmac_f32_e32 v39, v3, v12
	v_mul_f32_e32 v44, v18, v15
	v_add_f32_e32 v3, v28, v30
	v_fma_f32 v38, v2, v12, -v16
	v_mul_f32_e32 v2, v19, v15
	v_fmac_f32_e32 v44, v19, v14
	v_fma_f32 v16, -0.5, v3, v24
	v_mov_b32_e32 v19, v17
	v_fma_f32 v43, v18, v14, -v2
	v_sub_f32_e32 v3, v29, v31
	v_mov_b32_e32 v18, v16
	v_fmac_f32_e32 v19, 0xbf5db3d7, v20
	v_fmac_f32_e32 v17, 0x3f5db3d7, v20
	v_add_f32_e32 v20, v26, v34
	v_fma_f32 v26, -0.5, v21, v26
	v_add_f32_e32 v2, v24, v28
	v_fmac_f32_e32 v18, 0x3f5db3d7, v3
	v_fmac_f32_e32 v16, 0xbf5db3d7, v3
	v_add_f32_e32 v3, v25, v29
	v_sub_f32_e32 v21, v35, v37
	v_mov_b32_e32 v24, v26
	v_add_f32_e32 v25, v35, v37
	v_fmac_f32_e32 v24, 0x3f5db3d7, v21
	v_fmac_f32_e32 v26, 0xbf5db3d7, v21
	v_add_f32_e32 v21, v27, v35
	v_fmac_f32_e32 v27, -0.5, v25
	v_sub_f32_e32 v28, v34, v36
	v_mov_b32_e32 v25, v27
	v_add_f32_e32 v29, v38, v43
	v_fmac_f32_e32 v25, 0xbf5db3d7, v28
	v_fmac_f32_e32 v27, 0x3f5db3d7, v28
	v_add_f32_e32 v28, v0, v38
	v_fmac_f32_e32 v0, -0.5, v29
	v_add_f32_e32 v2, v2, v30
	v_add_f32_e32 v3, v3, v31
	v_sub_f32_e32 v29, v39, v44
	v_mov_b32_e32 v30, v0
	v_add_f32_e32 v31, v39, v44
	v_fmac_f32_e32 v30, 0x3f5db3d7, v29
	v_fmac_f32_e32 v0, 0xbf5db3d7, v29
	v_add_f32_e32 v29, v1, v39
	v_fmac_f32_e32 v1, -0.5, v31
	ds_write2_b64 v78, v[2:3], v[18:19] offset1:7
	ds_write_b64 v78, v[16:17] offset:112
	v_mul_u32_u24_e32 v2, 21, v32
	v_sub_f32_e32 v34, v38, v43
	v_mov_b32_e32 v31, v1
	v_add_u32_sdwa v2, v2, v33 dst_sel:DWORD dst_unused:UNUSED_PAD src0_sel:DWORD src1_sel:BYTE_0
	v_add_f32_e32 v20, v20, v36
	v_add_f32_e32 v21, v21, v37
	;; [unrolled: 1-line block ×4, first 2 shown]
	v_fmac_f32_e32 v31, 0xbf5db3d7, v34
	v_fmac_f32_e32 v1, 0x3f5db3d7, v34
	v_lshl_add_u32 v79, v2, 3, v73
	ds_write2_b64 v79, v[20:21], v[24:25] offset1:7
	ds_write_b64 v79, v[26:27] offset:112
	s_and_saveexec_b64 s[0:1], vcc
	s_cbranch_execz .LBB0_5
; %bb.4:
	v_mul_u32_u24_e32 v2, 21, v74
	v_add_u32_sdwa v2, v2, v75 dst_sel:DWORD dst_unused:UNUSED_PAD src0_sel:DWORD src1_sel:BYTE_0
	v_lshl_add_u32 v2, v2, 3, v73
	ds_write2_b64 v2, v[28:29], v[30:31] offset1:7
	ds_write_b64 v2, v[0:1] offset:112
.LBB0_5:
	s_or_b64 exec, exec, s[0:1]
	v_add_u32_e32 v2, 0x800, v71
	s_waitcnt lgkmcnt(0)
	s_barrier
	ds_read2_b64 v[32:35], v71 offset1:147
	ds_read2_b64 v[36:39], v2 offset0:38 offset1:185
	v_cmp_gt_u16_e64 s[0:1], 63, v72
	s_and_saveexec_b64 s[2:3], s[0:1]
	s_cbranch_execz .LBB0_7
; %bb.6:
	v_add_u32_e32 v2, 0xa00, v71
	ds_read2_b64 v[24:27], v71 offset0:84 offset1:231
	ds_read2_b64 v[28:31], v2 offset0:58 offset1:205
.LBB0_7:
	s_or_b64 exec, exec, s[2:3]
	s_movk_i32 s6, 0x87
	v_mul_lo_u16_sdwa v2, v72, s6 dst_sel:DWORD dst_unused:UNUSED_PAD src0_sel:BYTE_0 src1_sel:DWORD
	v_sub_u16_sdwa v3, v72, v2 dst_sel:DWORD dst_unused:UNUSED_PAD src0_sel:DWORD src1_sel:BYTE_1
	v_lshrrev_b16_e32 v3, 1, v3
	v_mul_lo_u16_sdwa v16, v42, s6 dst_sel:DWORD dst_unused:UNUSED_PAD src0_sel:BYTE_0 src1_sel:DWORD
	v_and_b32_e32 v3, 0x7f, v3
	v_sub_u16_sdwa v17, v42, v16 dst_sel:DWORD dst_unused:UNUSED_PAD src0_sel:DWORD src1_sel:BYTE_1
	v_add_u16_sdwa v2, v3, v2 dst_sel:DWORD dst_unused:UNUSED_PAD src0_sel:DWORD src1_sel:BYTE_1
	v_lshrrev_b16_e32 v17, 1, v17
	v_lshrrev_b16_e32 v2, 4, v2
	v_and_b32_e32 v17, 0x7f, v17
	v_and_b32_e32 v44, 15, v2
	v_add_u16_sdwa v16, v17, v16 dst_sel:DWORD dst_unused:UNUSED_PAD src0_sel:DWORD src1_sel:BYTE_1
	v_mul_lo_u16_e32 v2, 21, v44
	v_lshrrev_b16_e32 v16, 4, v16
	v_sub_u16_e32 v2, v72, v2
	v_and_b32_e32 v76, 15, v16
	v_and_b32_e32 v45, 0xff, v2
	v_mul_lo_u16_e32 v16, 21, v76
	v_mad_u64_u32 v[2:3], s[2:3], v45, 24, s[14:15]
	v_sub_u16_e32 v16, v42, v16
	v_and_b32_e32 v77, 0xff, v16
	v_mad_u64_u32 v[42:43], s[2:3], v77, 24, s[14:15]
	global_load_dwordx4 v[20:23], v[2:3], off offset:112
	global_load_dwordx2 v[69:70], v[2:3], off offset:128
	global_load_dwordx4 v[16:19], v[42:43], off offset:112
	global_load_dwordx2 v[67:68], v[42:43], off offset:128
	s_movk_i32 s6, 0x54
	v_mul_u32_u24_sdwa v2, v44, s6 dst_sel:DWORD dst_unused:UNUSED_PAD src0_sel:WORD_0 src1_sel:DWORD
	v_add_u32_e32 v2, v2, v45
	v_lshl_add_u32 v80, v2, 3, v73
	s_waitcnt vmcnt(0) lgkmcnt(0)
	s_barrier
	v_mul_f32_e32 v45, v39, v70
	v_mul_f32_e32 v3, v35, v21
	;; [unrolled: 1-line block ×9, first 2 shown]
	v_fma_f32 v34, v34, v20, -v3
	v_fmac_f32_e32 v42, v35, v20
	v_fma_f32 v35, v36, v22, -v43
	v_fmac_f32_e32 v44, v37, v22
	;; [unrolled: 2-line block ×3, first 2 shown]
	v_mul_f32_e32 v47, v27, v17
	v_mul_f32_e32 v48, v29, v19
	;; [unrolled: 1-line block ×3, first 2 shown]
	v_fmac_f32_e32 v2, v27, v16
	v_fma_f32 v27, v30, v67, -v50
	v_fmac_f32_e32 v51, v31, v67
	v_sub_f32_e32 v35, v32, v35
	v_sub_f32_e32 v37, v33, v44
	;; [unrolled: 1-line block ×4, first 2 shown]
	v_fma_f32 v3, v26, v16, -v47
	v_fma_f32 v26, v28, v18, -v48
	v_fmac_f32_e32 v49, v29, v18
	v_fma_f32 v36, v32, 2.0, -v35
	v_fma_f32 v43, v33, 2.0, -v37
	;; [unrolled: 1-line block ×4, first 2 shown]
	v_sub_f32_e32 v26, v24, v26
	v_sub_f32_e32 v28, v25, v49
	;; [unrolled: 1-line block ×5, first 2 shown]
	v_add_f32_e32 v31, v37, v31
	v_sub_f32_e32 v32, v36, v32
	v_sub_f32_e32 v33, v43, v33
	;; [unrolled: 1-line block ×3, first 2 shown]
	v_add_f32_e32 v39, v28, v27
	v_fma_f32 v34, v35, 2.0, -v30
	v_fma_f32 v35, v37, 2.0, -v31
	;; [unrolled: 1-line block ×4, first 2 shown]
	ds_write2_b64 v80, v[36:37], v[34:35] offset1:21
	ds_write2_b64 v80, v[32:33], v[30:31] offset0:42 offset1:63
	s_and_saveexec_b64 s[2:3], s[0:1]
	s_cbranch_execz .LBB0_9
; %bb.8:
	v_fma_f32 v31, v28, 2.0, -v39
	v_fma_f32 v28, v25, 2.0, -v28
	;; [unrolled: 1-line block ×3, first 2 shown]
	v_sub_f32_e32 v25, v28, v2
	v_fma_f32 v2, v24, 2.0, -v26
	v_fma_f32 v3, v3, 2.0, -v27
	v_sub_f32_e32 v24, v2, v3
	v_fma_f32 v27, v2, 2.0, -v24
	v_mul_u32_u24_sdwa v2, v76, s6 dst_sel:DWORD dst_unused:UNUSED_PAD src0_sel:WORD_0 src1_sel:DWORD
	v_add_u32_e32 v2, v2, v77
	v_fma_f32 v30, v26, 2.0, -v38
	v_fma_f32 v28, v28, 2.0, -v25
	v_lshl_add_u32 v2, v2, 3, v73
	ds_write2_b64 v2, v[27:28], v[30:31] offset1:21
	ds_write2_b64 v2, v[24:25], v[38:39] offset0:42 offset1:63
.LBB0_9:
	s_or_b64 exec, exec, s[2:3]
	v_mad_u64_u32 v[2:3], s[2:3], v72, 48, s[14:15]
	s_waitcnt lgkmcnt(0)
	s_barrier
	global_load_dwordx4 v[32:35], v[2:3], off offset:616
	global_load_dwordx4 v[28:31], v[2:3], off offset:632
	;; [unrolled: 1-line block ×3, first 2 shown]
	v_add_u32_e32 v95, 0x800, v71
	ds_read2_b64 v[42:45], v71 offset1:84
	ds_read2_b64 v[46:49], v71 offset0:168 offset1:252
	ds_read_b64 v[2:3], v71 offset:4032
	ds_read2_b64 v[81:84], v95 offset0:80 offset1:164
	v_mov_b32_e32 v36, s13
	v_add_co_u32_e64 v51, s[2:3], s12, v41
	v_addc_co_u32_e64 v85, s[2:3], 0, v36, s[2:3]
	s_mov_b32 s7, 0x3f3bfb3b
	s_mov_b32 s6, 0xbf3bfb3b
	;; [unrolled: 1-line block ×3, first 2 shown]
	s_movk_i32 s12, 0x1260
	s_waitcnt vmcnt(2) lgkmcnt(3)
	v_mul_f32_e32 v36, v45, v33
	v_mul_f32_e32 v37, v44, v33
	s_waitcnt lgkmcnt(2)
	v_mul_f32_e32 v41, v47, v35
	v_mul_f32_e32 v50, v46, v35
	s_waitcnt vmcnt(0) lgkmcnt(0)
	v_mul_f32_e32 v90, v84, v25
	v_mul_f32_e32 v91, v83, v25
	v_mul_f32_e32 v92, v3, v27
	v_mul_f32_e32 v93, v2, v27
	v_mul_f32_e32 v86, v49, v29
	v_mul_f32_e32 v87, v48, v29
	v_mul_f32_e32 v88, v82, v31
	v_mul_f32_e32 v89, v81, v31
	v_fma_f32 v36, v44, v32, -v36
	v_fmac_f32_e32 v37, v45, v32
	v_fma_f32 v41, v46, v34, -v41
	v_fmac_f32_e32 v50, v47, v34
	;; [unrolled: 2-line block ×6, first 2 shown]
	v_add_f32_e32 v3, v36, v2
	v_add_f32_e32 v47, v37, v93
	v_sub_f32_e32 v2, v36, v2
	v_sub_f32_e32 v36, v37, v93
	v_add_f32_e32 v37, v41, v46
	v_add_f32_e32 v48, v50, v91
	v_sub_f32_e32 v41, v41, v46
	v_sub_f32_e32 v46, v50, v91
	;; [unrolled: 4-line block ×4, first 2 shown]
	v_sub_f32_e32 v3, v3, v49
	v_sub_f32_e32 v47, v47, v50
	;; [unrolled: 1-line block ×4, first 2 shown]
	v_add_f32_e32 v86, v44, v41
	v_add_f32_e32 v87, v45, v46
	v_add_f32_e32 v49, v49, v81
	v_add_f32_e32 v50, v50, v82
	v_sub_f32_e32 v88, v44, v41
	v_sub_f32_e32 v89, v45, v46
	;; [unrolled: 1-line block ×6, first 2 shown]
	v_add_f32_e32 v81, v86, v2
	v_add_f32_e32 v36, v87, v36
	v_mul_f32_e32 v82, 0x3f4a47b2, v3
	v_mul_f32_e32 v86, 0x3d64c772, v37
	;; [unrolled: 1-line block ×3, first 2 shown]
	v_add_f32_e32 v2, v42, v49
	v_add_f32_e32 v3, v43, v50
	v_mul_f32_e32 v47, 0x3f4a47b2, v47
	v_mul_f32_e32 v88, 0xbf08b237, v88
	v_mul_f32_e32 v89, 0xbf08b237, v89
	v_fma_f32 v42, v83, s7, -v86
	v_fma_f32 v43, v84, s7, -v87
	v_mov_b32_e32 v86, v2
	v_mov_b32_e32 v87, v3
	v_mul_f32_e32 v90, 0xbf5ff5aa, v41
	v_mul_f32_e32 v91, 0xbf5ff5aa, v46
	v_fmac_f32_e32 v86, 0xbf955555, v49
	v_fmac_f32_e32 v87, 0xbf955555, v50
	v_fma_f32 v49, v83, s6, -v82
	v_fmac_f32_e32 v82, 0x3d64c772, v37
	v_fma_f32 v37, v84, s6, -v47
	v_fmac_f32_e32 v47, 0x3d64c772, v48
	v_fma_f32 v48, v41, s2, -v88
	v_fmac_f32_e32 v88, 0x3eae86e6, v44
	v_fma_f32 v46, v46, s2, -v89
	v_fmac_f32_e32 v89, 0x3eae86e6, v45
	v_fmac_f32_e32 v90, 0xbeae86e6, v44
	;; [unrolled: 1-line block ×3, first 2 shown]
	v_add_f32_e32 v50, v82, v86
	v_add_f32_e32 v82, v47, v87
	v_fmac_f32_e32 v88, 0x3ee1c552, v81
	v_fmac_f32_e32 v89, 0x3ee1c552, v36
	v_add_f32_e32 v45, v42, v86
	v_add_f32_e32 v47, v43, v87
	;; [unrolled: 1-line block ×4, first 2 shown]
	v_fmac_f32_e32 v48, 0x3ee1c552, v81
	v_fmac_f32_e32 v46, 0x3ee1c552, v36
	;; [unrolled: 1-line block ×4, first 2 shown]
	v_add_f32_e32 v36, v89, v50
	v_sub_f32_e32 v37, v82, v88
	s_movk_i32 s2, 0x1000
	v_add_f32_e32 v41, v91, v49
	v_sub_f32_e32 v42, v83, v90
	v_sub_f32_e32 v43, v45, v46
	v_add_f32_e32 v44, v48, v47
	v_add_f32_e32 v45, v46, v45
	v_sub_f32_e32 v46, v47, v48
	v_sub_f32_e32 v47, v49, v91
	v_add_f32_e32 v48, v90, v83
	v_sub_f32_e32 v49, v50, v89
	v_add_f32_e32 v50, v88, v82
	ds_write2_b64 v71, v[2:3], v[36:37] offset1:84
	ds_write2_b64 v71, v[41:42], v[43:44] offset0:168 offset1:252
	ds_write2_b64 v95, v[45:46], v[47:48] offset0:80 offset1:164
	ds_write_b64 v71, v[49:50] offset:4032
	v_add_co_u32_e64 v2, s[2:3], s2, v51
	v_addc_co_u32_e64 v3, s[2:3], 0, v85, s[2:3]
	s_waitcnt lgkmcnt(0)
	s_barrier
	global_load_dwordx2 v[2:3], v[2:3], off offset:608
	v_add_co_u32_e64 v36, s[2:3], s12, v51
	v_addc_co_u32_e64 v37, s[2:3], 0, v85, s[2:3]
	global_load_dwordx2 v[49:50], v[36:37], off offset:672
	global_load_dwordx2 v[85:86], v[36:37], off offset:1344
	;; [unrolled: 1-line block ×6, first 2 shown]
	ds_read2_b64 v[41:44], v71 offset1:84
	ds_read2_b64 v[45:48], v71 offset0:168 offset1:252
	ds_read2_b64 v[81:84], v95 offset0:80 offset1:164
	s_mov_b32 s2, 0xbf5ff5aa
	s_waitcnt vmcnt(6) lgkmcnt(2)
	v_mul_f32_e32 v36, v42, v3
	v_mul_f32_e32 v37, v41, v3
	s_waitcnt vmcnt(5)
	v_mul_f32_e32 v51, v44, v50
	v_mul_f32_e32 v3, v43, v50
	s_waitcnt vmcnt(4) lgkmcnt(1)
	v_mul_f32_e32 v96, v46, v86
	v_mul_f32_e32 v50, v45, v86
	s_waitcnt vmcnt(3)
	v_mul_f32_e32 v97, v48, v88
	v_mul_f32_e32 v86, v47, v88
	v_fma_f32 v36, v41, v2, -v36
	v_fmac_f32_e32 v37, v42, v2
	v_fma_f32 v2, v43, v49, -v51
	v_fmac_f32_e32 v3, v44, v49
	;; [unrolled: 2-line block ×4, first 2 shown]
	ds_write2_b64 v71, v[36:37], v[2:3] offset1:84
	ds_write2_b64 v71, v[49:50], v[85:86] offset0:168 offset1:252
	ds_read_b64 v[2:3], v71 offset:4032
	s_waitcnt vmcnt(2) lgkmcnt(3)
	v_mul_f32_e32 v98, v82, v90
	v_mul_f32_e32 v88, v81, v90
	s_waitcnt vmcnt(1)
	v_mul_f32_e32 v90, v84, v92
	v_mul_f32_e32 v37, v83, v92
	v_fma_f32 v87, v81, v89, -v98
	v_fmac_f32_e32 v88, v82, v89
	v_fma_f32 v36, v83, v91, -v90
	v_fmac_f32_e32 v37, v84, v91
	ds_write2_b64 v95, v[87:88], v[36:37] offset0:80 offset1:164
	s_waitcnt vmcnt(0) lgkmcnt(1)
	v_mul_f32_e32 v36, v3, v94
	v_mul_f32_e32 v37, v2, v94
	v_fma_f32 v36, v2, v93, -v36
	v_fmac_f32_e32 v37, v3, v93
	ds_write_b64 v71, v[36:37] offset:4032
	s_waitcnt lgkmcnt(0)
	s_barrier
	ds_read2_b64 v[41:44], v71 offset1:84
	ds_read_b64 v[2:3], v71 offset:4032
	ds_read2_b64 v[45:48], v71 offset0:168 offset1:252
	ds_read2_b64 v[81:84], v95 offset0:80 offset1:164
	s_waitcnt lgkmcnt(0)
	s_barrier
	v_add_f32_e32 v36, v43, v2
	v_sub_f32_e32 v2, v43, v2
	v_add_f32_e32 v43, v45, v83
	v_add_f32_e32 v37, v44, v3
	v_sub_f32_e32 v3, v44, v3
	v_add_f32_e32 v44, v46, v84
	v_sub_f32_e32 v45, v45, v83
	;; [unrolled: 2-line block ×6, first 2 shown]
	v_sub_f32_e32 v36, v36, v49
	v_sub_f32_e32 v43, v49, v43
	v_add_f32_e32 v84, v47, v45
	v_add_f32_e32 v49, v49, v51
	v_sub_f32_e32 v83, v44, v37
	v_sub_f32_e32 v37, v37, v50
	;; [unrolled: 1-line block ×3, first 2 shown]
	v_add_f32_e32 v85, v48, v46
	v_sub_f32_e32 v86, v47, v45
	v_sub_f32_e32 v47, v2, v47
	;; [unrolled: 1-line block ×3, first 2 shown]
	v_add_f32_e32 v50, v50, v81
	v_add_f32_e32 v51, v84, v2
	v_add_f32_e32 v2, v41, v49
	v_sub_f32_e32 v87, v48, v46
	v_sub_f32_e32 v48, v3, v48
	;; [unrolled: 1-line block ×3, first 2 shown]
	v_add_f32_e32 v81, v85, v3
	v_add_f32_e32 v3, v42, v50
	v_mov_b32_e32 v88, v2
	v_mul_f32_e32 v36, 0x3f4a47b2, v36
	v_mul_f32_e32 v37, 0x3f4a47b2, v37
	;; [unrolled: 1-line block ×6, first 2 shown]
	v_fmac_f32_e32 v88, 0xbf955555, v49
	v_mov_b32_e32 v49, v3
	v_mul_f32_e32 v86, 0x3f5ff5aa, v45
	v_mul_f32_e32 v87, 0x3f5ff5aa, v46
	v_fmac_f32_e32 v49, 0xbf955555, v50
	v_fma_f32 v41, v82, s7, -v41
	v_fma_f32 v42, v83, s7, -v42
	;; [unrolled: 1-line block ×3, first 2 shown]
	v_fmac_f32_e32 v36, 0x3d64c772, v43
	v_fma_f32 v43, v83, s6, -v37
	v_fmac_f32_e32 v37, 0x3d64c772, v44
	v_fma_f32 v82, v45, s2, -v84
	;; [unrolled: 2-line block ×3, first 2 shown]
	v_fmac_f32_e32 v85, 0xbeae86e6, v48
	v_fmac_f32_e32 v86, 0x3eae86e6, v47
	;; [unrolled: 1-line block ×3, first 2 shown]
	v_add_f32_e32 v36, v36, v88
	v_add_f32_e32 v37, v37, v49
	v_fmac_f32_e32 v84, 0xbee1c552, v51
	v_fmac_f32_e32 v85, 0xbee1c552, v81
	v_add_f32_e32 v47, v41, v88
	v_add_f32_e32 v48, v42, v49
	;; [unrolled: 1-line block ×4, first 2 shown]
	v_fmac_f32_e32 v82, 0xbee1c552, v51
	v_fmac_f32_e32 v83, 0xbee1c552, v81
	;; [unrolled: 1-line block ×4, first 2 shown]
	v_add_f32_e32 v41, v36, v85
	v_sub_f32_e32 v42, v37, v84
	v_add_f32_e32 v43, v87, v50
	v_sub_f32_e32 v44, v88, v86
	v_sub_f32_e32 v45, v47, v83
	v_add_f32_e32 v46, v82, v48
	v_add_f32_e32 v47, v83, v47
	v_sub_f32_e32 v48, v48, v82
	v_sub_f32_e32 v49, v50, v87
	v_add_f32_e32 v50, v86, v88
	v_sub_f32_e32 v36, v36, v85
	v_add_f32_e32 v37, v84, v37
	ds_write2_b64 v40, v[2:3], v[41:42] offset1:1
	ds_write2_b64 v40, v[43:44], v[45:46] offset0:2 offset1:3
	ds_write2_b64 v40, v[47:48], v[49:50] offset0:4 offset1:5
	ds_write_b64 v40, v[36:37] offset:48
	v_add_u32_e32 v2, 0x400, v71
	s_waitcnt lgkmcnt(0)
	s_barrier
	ds_read2_b64 v[40:43], v71 offset1:84
	ds_read2_b64 v[48:51], v2 offset0:68 offset1:152
	ds_read2_b64 v[44:47], v95 offset0:136 offset1:220
	s_and_saveexec_b64 s[2:3], vcc
	s_cbranch_execz .LBB0_11
; %bb.10:
	ds_read2_b64 v[36:39], v2 offset0:40 offset1:236
	ds_read_b64 v[0:1], v71 offset:4480
.LBB0_11:
	s_or_b64 exec, exec, s[2:3]
	s_waitcnt lgkmcnt(1)
	v_mul_f32_e32 v2, v5, v49
	v_mul_f32_e32 v3, v5, v48
	v_fmac_f32_e32 v2, v4, v48
	v_fma_f32 v3, v4, v49, -v3
	s_waitcnt lgkmcnt(0)
	v_mul_f32_e32 v4, v7, v45
	v_mul_f32_e32 v5, v7, v44
	v_fmac_f32_e32 v4, v6, v44
	v_fma_f32 v5, v6, v45, -v5
	v_mul_f32_e32 v6, v9, v50
	v_fma_f32 v45, v8, v51, -v6
	v_mul_f32_e32 v48, v11, v47
	v_mul_f32_e32 v6, v11, v46
	v_fmac_f32_e32 v48, v10, v46
	v_fma_f32 v46, v10, v47, -v6
	v_mul_f32_e32 v47, v13, v39
	v_mul_f32_e32 v6, v13, v38
	v_fmac_f32_e32 v47, v12, v38
	v_fma_f32 v38, v12, v39, -v6
	v_mul_f32_e32 v39, v15, v1
	v_fmac_f32_e32 v39, v14, v0
	v_mul_f32_e32 v0, v15, v0
	v_fma_f32 v14, v14, v1, -v0
	v_add_f32_e32 v0, v40, v2
	v_mul_f32_e32 v44, v9, v51
	v_add_f32_e32 v6, v0, v4
	v_add_f32_e32 v0, v2, v4
	v_fmac_f32_e32 v44, v8, v50
	v_fma_f32 v8, -0.5, v0, v40
	v_sub_f32_e32 v0, v3, v5
	v_mov_b32_e32 v10, v8
	v_fmac_f32_e32 v10, 0xbf5db3d7, v0
	v_fmac_f32_e32 v8, 0x3f5db3d7, v0
	v_add_f32_e32 v0, v41, v3
	v_add_f32_e32 v7, v0, v5
	v_add_f32_e32 v0, v3, v5
	v_fma_f32 v9, -0.5, v0, v41
	v_sub_f32_e32 v0, v2, v4
	v_mov_b32_e32 v11, v9
	v_fmac_f32_e32 v11, 0x3f5db3d7, v0
	v_fmac_f32_e32 v9, 0xbf5db3d7, v0
	v_add_f32_e32 v0, v42, v44
	v_add_f32_e32 v12, v0, v48
	v_add_f32_e32 v0, v44, v48
	v_fma_f32 v42, -0.5, v0, v42
	v_sub_f32_e32 v0, v45, v46
	v_mov_b32_e32 v40, v42
	v_fmac_f32_e32 v40, 0xbf5db3d7, v0
	v_fmac_f32_e32 v42, 0x3f5db3d7, v0
	v_add_f32_e32 v0, v43, v45
	v_add_f32_e32 v13, v0, v46
	v_add_f32_e32 v0, v45, v46
	v_fmac_f32_e32 v43, -0.5, v0
	v_sub_f32_e32 v0, v44, v48
	v_mov_b32_e32 v41, v43
	v_add_f32_e32 v1, v47, v39
	v_add_f32_e32 v3, v38, v14
	v_fmac_f32_e32 v41, 0x3f5db3d7, v0
	v_fmac_f32_e32 v43, 0xbf5db3d7, v0
	v_add_f32_e32 v0, v47, v36
	v_fmac_f32_e32 v36, -0.5, v1
	v_add_f32_e32 v1, v38, v37
	v_fmac_f32_e32 v37, -0.5, v3
	v_sub_f32_e32 v4, v38, v14
	v_mov_b32_e32 v2, v36
	v_sub_f32_e32 v5, v47, v39
	v_mov_b32_e32 v3, v37
	v_add_f32_e32 v0, v0, v39
	v_fmac_f32_e32 v2, 0xbf5db3d7, v4
	v_add_f32_e32 v1, v14, v1
	v_fmac_f32_e32 v3, 0x3f5db3d7, v5
	s_barrier
	ds_write2_b64 v78, v[6:7], v[10:11] offset1:7
	ds_write_b64 v78, v[8:9] offset:112
	ds_write2_b64 v79, v[12:13], v[40:41] offset1:7
	ds_write_b64 v79, v[42:43] offset:112
	s_and_saveexec_b64 s[2:3], vcc
	s_cbranch_execz .LBB0_13
; %bb.12:
	v_mul_u32_u24_e32 v6, 21, v74
	v_add_u32_sdwa v6, v6, v75 dst_sel:DWORD dst_unused:UNUSED_PAD src0_sel:DWORD src1_sel:BYTE_0
	v_mul_f32_e32 v4, 0x3f5db3d7, v4
	v_mul_f32_e32 v5, 0x3f5db3d7, v5
	v_lshl_add_u32 v6, v6, 3, v73
	v_sub_f32_e32 v5, v37, v5
	v_add_f32_e32 v4, v4, v36
	ds_write2_b64 v6, v[0:1], v[2:3] offset1:7
	ds_write_b64 v6, v[4:5] offset:112
.LBB0_13:
	s_or_b64 exec, exec, s[2:3]
	v_add_u32_e32 v8, 0x800, v71
	s_waitcnt lgkmcnt(0)
	s_barrier
	ds_read2_b64 v[4:7], v71 offset1:147
	ds_read2_b64 v[8:11], v8 offset0:38 offset1:185
	s_and_saveexec_b64 s[2:3], s[0:1]
	s_cbranch_execz .LBB0_15
; %bb.14:
	v_add_u32_e32 v0, 0xa00, v71
	ds_read2_b64 v[40:43], v71 offset0:84 offset1:231
	ds_read2_b64 v[0:3], v0 offset0:58 offset1:205
.LBB0_15:
	s_or_b64 exec, exec, s[2:3]
	s_waitcnt lgkmcnt(1)
	v_mul_f32_e32 v12, v21, v7
	v_fmac_f32_e32 v12, v20, v6
	v_mul_f32_e32 v6, v21, v6
	v_fma_f32 v6, v20, v7, -v6
	s_waitcnt lgkmcnt(0)
	v_mul_f32_e32 v7, v23, v9
	v_fmac_f32_e32 v7, v22, v8
	v_mul_f32_e32 v8, v23, v8
	v_fma_f32 v8, v22, v9, -v8
	v_mul_f32_e32 v9, v70, v11
	v_fmac_f32_e32 v9, v69, v10
	v_mul_f32_e32 v10, v70, v10
	v_fma_f32 v10, v69, v11, -v10
	v_sub_f32_e32 v11, v4, v7
	v_sub_f32_e32 v13, v5, v8
	;; [unrolled: 1-line block ×4, first 2 shown]
	v_fma_f32 v7, v4, 2.0, -v11
	v_fma_f32 v8, v5, 2.0, -v13
	;; [unrolled: 1-line block ×4, first 2 shown]
	v_sub_f32_e32 v4, v7, v4
	v_sub_f32_e32 v5, v8, v5
	v_fma_f32 v6, v7, 2.0, -v4
	v_fma_f32 v7, v8, 2.0, -v5
	v_add_f32_e32 v8, v11, v10
	v_sub_f32_e32 v9, v13, v9
	v_fma_f32 v10, v11, 2.0, -v8
	v_fma_f32 v11, v13, 2.0, -v9
	s_barrier
	ds_write2_b64 v80, v[6:7], v[10:11] offset1:21
	ds_write2_b64 v80, v[4:5], v[8:9] offset0:42 offset1:63
	s_and_saveexec_b64 s[2:3], s[0:1]
	s_cbranch_execz .LBB0_17
; %bb.16:
	v_mul_f32_e32 v4, v19, v0
	v_fma_f32 v4, v18, v1, -v4
	v_mul_f32_e32 v1, v19, v1
	v_sub_f32_e32 v7, v41, v4
	v_mul_f32_e32 v4, v68, v3
	v_fmac_f32_e32 v1, v18, v0
	v_mul_f32_e32 v9, v17, v43
	v_fmac_f32_e32 v4, v67, v2
	v_sub_f32_e32 v0, v40, v1
	v_mul_f32_e32 v1, v17, v42
	v_mul_f32_e32 v2, v68, v2
	v_fmac_f32_e32 v9, v16, v42
	v_fma_f32 v1, v16, v43, -v1
	v_fma_f32 v2, v67, v3, -v2
	v_sub_f32_e32 v10, v9, v4
	v_sub_f32_e32 v2, v1, v2
	;; [unrolled: 1-line block ×3, first 2 shown]
	v_add_f32_e32 v3, v0, v2
	v_fma_f32 v6, v7, 2.0, -v4
	v_fma_f32 v5, v0, 2.0, -v3
	;; [unrolled: 1-line block ×6, first 2 shown]
	v_sub_f32_e32 v1, v7, v1
	v_sub_f32_e32 v0, v2, v0
	s_movk_i32 s0, 0x54
	v_fma_f32 v8, v7, 2.0, -v1
	v_fma_f32 v7, v2, 2.0, -v0
	v_mul_u32_u24_sdwa v2, v76, s0 dst_sel:DWORD dst_unused:UNUSED_PAD src0_sel:WORD_0 src1_sel:DWORD
	v_add_u32_e32 v2, v2, v77
	v_lshl_add_u32 v2, v2, 3, v73
	ds_write2_b64 v2, v[7:8], v[5:6] offset1:21
	ds_write2_b64 v2, v[0:1], v[3:4] offset0:42 offset1:63
.LBB0_17:
	s_or_b64 exec, exec, s[2:3]
	s_waitcnt lgkmcnt(0)
	s_barrier
	ds_read2_b64 v[0:3], v71 offset1:84
	ds_read2_b64 v[4:7], v71 offset0:168 offset1:252
	v_add_u32_e32 v16, 0x800, v71
	ds_read2_b64 v[8:11], v16 offset0:80 offset1:164
	ds_read_b64 v[14:15], v71 offset:4032
	v_mad_u64_u32 v[12:13], s[0:1], s10, v56, 0
	s_waitcnt lgkmcnt(3)
	v_mul_f32_e32 v17, v33, v3
	v_fmac_f32_e32 v17, v32, v2
	v_mul_f32_e32 v2, v33, v2
	v_fma_f32 v2, v32, v3, -v2
	s_waitcnt lgkmcnt(2)
	v_mul_f32_e32 v3, v35, v5
	v_fmac_f32_e32 v3, v34, v4
	v_mul_f32_e32 v4, v35, v4
	v_fma_f32 v4, v34, v5, -v4
	v_mul_f32_e32 v5, v29, v7
	v_fmac_f32_e32 v5, v28, v6
	v_mul_f32_e32 v6, v29, v6
	v_fma_f32 v6, v28, v7, -v6
	s_waitcnt lgkmcnt(1)
	v_mul_f32_e32 v7, v31, v9
	v_fmac_f32_e32 v7, v30, v8
	v_mul_f32_e32 v8, v31, v8
	v_fma_f32 v8, v30, v9, -v8
	;; [unrolled: 9-line block ×3, first 2 shown]
	v_add_f32_e32 v15, v17, v11
	v_add_f32_e32 v18, v2, v14
	v_sub_f32_e32 v2, v2, v14
	v_add_f32_e32 v14, v3, v9
	v_sub_f32_e32 v11, v17, v11
	;; [unrolled: 2-line block ×6, first 2 shown]
	v_add_f32_e32 v8, v17, v18
	v_add_f32_e32 v7, v9, v7
	;; [unrolled: 1-line block ×4, first 2 shown]
	v_sub_f32_e32 v19, v14, v15
	v_sub_f32_e32 v20, v17, v18
	;; [unrolled: 1-line block ×6, first 2 shown]
	v_add_f32_e32 v21, v5, v3
	v_add_f32_e32 v1, v1, v8
	v_mov_b32_e32 v25, v0
	v_add_f32_e32 v22, v6, v4
	v_sub_f32_e32 v23, v5, v3
	v_sub_f32_e32 v24, v6, v4
	;; [unrolled: 1-line block ×4, first 2 shown]
	v_add_f32_e32 v9, v21, v11
	v_mul_f32_e32 v10, 0x3f4a47b2, v15
	v_mul_f32_e32 v11, 0x3f4a47b2, v18
	;; [unrolled: 1-line block ×4, first 2 shown]
	v_fmac_f32_e32 v25, 0xbf955555, v7
	v_mov_b32_e32 v7, v1
	s_mov_b32 s1, 0x3f3bfb3b
	v_sub_f32_e32 v6, v2, v6
	v_sub_f32_e32 v4, v4, v2
	v_add_f32_e32 v2, v22, v2
	v_mul_f32_e32 v21, 0x3f08b237, v23
	v_mul_f32_e32 v22, 0x3f08b237, v24
	s_mov_b32 s0, 0xbf5ff5aa
	v_fmac_f32_e32 v7, 0xbf955555, v8
	v_fma_f32 v8, v19, s1, -v15
	v_fma_f32 v15, v20, s1, -v18
	s_mov_b32 s1, 0xbf3bfb3b
	v_mul_f32_e32 v23, 0xbf5ff5aa, v3
	v_mul_f32_e32 v24, 0xbf5ff5aa, v4
	v_fma_f32 v18, v19, s1, -v10
	v_fmac_f32_e32 v10, 0x3d64c772, v14
	v_fma_f32 v14, v20, s1, -v11
	v_fmac_f32_e32 v11, 0x3d64c772, v17
	v_fma_f32 v17, v3, s0, -v21
	v_fmac_f32_e32 v21, 0xbeae86e6, v5
	v_fma_f32 v19, v4, s0, -v22
	v_fmac_f32_e32 v22, 0xbeae86e6, v6
	s_mov_b32 s0, 0x3eae86e6
	v_fma_f32 v20, v5, s0, -v23
	v_fma_f32 v23, v6, s0, -v24
	v_add_f32_e32 v24, v10, v25
	v_add_f32_e32 v26, v11, v7
	v_fmac_f32_e32 v21, 0xbee1c552, v9
	v_fmac_f32_e32 v22, 0xbee1c552, v2
	v_add_f32_e32 v8, v8, v25
	v_add_f32_e32 v10, v15, v7
	;; [unrolled: 1-line block ×4, first 2 shown]
	v_fmac_f32_e32 v17, 0xbee1c552, v9
	v_fmac_f32_e32 v19, 0xbee1c552, v2
	;; [unrolled: 1-line block ×4, first 2 shown]
	v_add_f32_e32 v2, v22, v24
	v_sub_f32_e32 v3, v26, v21
	v_add_f32_e32 v4, v23, v11
	v_sub_f32_e32 v5, v14, v20
	v_sub_f32_e32 v6, v8, v19
	v_add_f32_e32 v7, v17, v10
	v_add_f32_e32 v8, v19, v8
	v_sub_f32_e32 v9, v10, v17
	v_sub_f32_e32 v10, v11, v23
	v_add_f32_e32 v11, v20, v14
	v_sub_f32_e32 v14, v24, v22
	v_add_f32_e32 v15, v21, v26
	ds_write2_b64 v71, v[0:1], v[2:3] offset1:84
	ds_write2_b64 v71, v[4:5], v[6:7] offset0:168 offset1:252
	ds_write2_b64 v16, v[8:9], v[10:11] offset0:80 offset1:164
	ds_write_b64 v71, v[14:15] offset:4032
	s_waitcnt lgkmcnt(0)
	s_barrier
	ds_read2_b64 v[0:3], v71 offset1:84
	s_mov_b32 s0, 0x899406f7
	s_mov_b32 s1, 0x3f5bdd2b
	v_mad_u64_u32 v[7:8], s[2:3], s8, v72, 0
	s_waitcnt lgkmcnt(0)
	v_mul_f32_e32 v5, v64, v1
	v_fmac_f32_e32 v5, v63, v0
	v_cvt_f64_f32_e32 v[5:6], v5
	v_mul_f32_e32 v0, v64, v0
	v_fma_f32 v0, v63, v1, -v0
	v_cvt_f64_f32_e32 v[0:1], v0
	v_mul_f64 v[5:6], v[5:6], s[0:1]
	v_mov_b32_e32 v4, v13
	v_mul_f64 v[0:1], v[0:1], s[0:1]
	v_mad_u64_u32 v[9:10], s[2:3], s11, v56, v[4:5]
	v_mov_b32_e32 v4, v8
	v_mad_u64_u32 v[10:11], s[2:3], s9, v72, v[4:5]
	v_mov_b32_e32 v13, v9
	v_mul_f32_e32 v9, v66, v3
	v_fmac_f32_e32 v9, v65, v2
	v_mov_b32_e32 v8, v10
	v_cvt_f64_f32_e32 v[9:10], v9
	v_cvt_f32_f64_e32 v4, v[5:6]
	v_cvt_f32_f64_e32 v5, v[0:1]
	v_lshlrev_b64 v[0:1], 3, v[12:13]
	v_mul_f32_e32 v2, v66, v2
	v_fma_f32 v2, v65, v3, -v2
	v_mov_b32_e32 v6, s5
	v_cvt_f64_f32_e32 v[2:3], v2
	v_add_co_u32_e32 v11, vcc, s4, v0
	v_addc_co_u32_e32 v12, vcc, v6, v1, vcc
	v_lshlrev_b64 v[0:1], 3, v[7:8]
	v_mul_f64 v[6:7], v[9:10], s[0:1]
	v_add_co_u32_e32 v10, vcc, v11, v0
	v_mul_f64 v[8:9], v[2:3], s[0:1]
	v_addc_co_u32_e32 v11, vcc, v12, v1, vcc
	ds_read2_b64 v[0:3], v71 offset0:168 offset1:252
	global_store_dwordx2 v[10:11], v[4:5], off
	v_cvt_f32_f64_e32 v4, v[6:7]
	s_mul_i32 s2, s9, 0x2a0
	s_mul_hi_u32 s3, s8, 0x2a0
	s_waitcnt lgkmcnt(0)
	v_mul_f32_e32 v6, v62, v1
	v_fmac_f32_e32 v6, v61, v0
	v_mul_f32_e32 v0, v62, v0
	v_fma_f32 v0, v61, v1, -v0
	v_cvt_f64_f32_e32 v[0:1], v0
	v_cvt_f64_f32_e32 v[6:7], v6
	v_cvt_f32_f64_e32 v5, v[8:9]
	s_add_i32 s2, s3, s2
	v_mul_f64 v[0:1], v[0:1], s[0:1]
	v_mul_f64 v[6:7], v[6:7], s[0:1]
	s_mul_i32 s3, s8, 0x2a0
	v_mov_b32_e32 v9, s2
	v_add_co_u32_e32 v8, vcc, s3, v10
	v_addc_co_u32_e32 v9, vcc, v11, v9, vcc
	global_store_dwordx2 v[8:9], v[4:5], off
	v_cvt_f32_f64_e32 v5, v[0:1]
	v_mul_f32_e32 v0, v60, v3
	v_fmac_f32_e32 v0, v59, v2
	v_cvt_f32_f64_e32 v4, v[6:7]
	v_cvt_f64_f32_e32 v[6:7], v0
	v_mul_f32_e32 v0, v60, v2
	v_fma_f32 v0, v59, v3, -v0
	v_cvt_f64_f32_e32 v[10:11], v0
	ds_read2_b64 v[0:3], v16 offset0:80 offset1:164
	v_mov_b32_e32 v12, s2
	v_add_co_u32_e32 v8, vcc, s3, v8
	v_addc_co_u32_e32 v9, vcc, v9, v12, vcc
	global_store_dwordx2 v[8:9], v[4:5], off
	v_mul_f64 v[4:5], v[6:7], s[0:1]
	v_mul_f64 v[6:7], v[10:11], s[0:1]
	s_waitcnt lgkmcnt(0)
	v_mul_f32_e32 v10, v58, v1
	v_fmac_f32_e32 v10, v57, v0
	v_mul_f32_e32 v0, v58, v0
	v_fma_f32 v0, v57, v1, -v0
	v_cvt_f64_f32_e32 v[0:1], v0
	v_cvt_f64_f32_e32 v[10:11], v10
	v_cvt_f32_f64_e32 v4, v[4:5]
	v_cvt_f32_f64_e32 v5, v[6:7]
	v_mul_f64 v[0:1], v[0:1], s[0:1]
	v_mul_f64 v[6:7], v[10:11], s[0:1]
	v_mov_b32_e32 v10, s2
	v_add_co_u32_e32 v8, vcc, s3, v8
	v_addc_co_u32_e32 v9, vcc, v9, v10, vcc
	global_store_dwordx2 v[8:9], v[4:5], off
	v_cvt_f32_f64_e32 v5, v[0:1]
	v_mul_f32_e32 v0, v55, v3
	v_fmac_f32_e32 v0, v54, v2
	v_mul_f32_e32 v2, v55, v2
	v_fma_f32 v2, v54, v3, -v2
	v_cvt_f32_f64_e32 v4, v[6:7]
	v_cvt_f64_f32_e32 v[0:1], v0
	v_cvt_f64_f32_e32 v[2:3], v2
	ds_read_b64 v[6:7], v71 offset:4032
	v_add_co_u32_e32 v8, vcc, s3, v8
	v_addc_co_u32_e32 v9, vcc, v9, v10, vcc
	v_mul_f64 v[0:1], v[0:1], s[0:1]
	v_mul_f64 v[2:3], v[2:3], s[0:1]
	global_store_dwordx2 v[8:9], v[4:5], off
	s_waitcnt lgkmcnt(0)
	v_mul_f32_e32 v4, v53, v7
	v_fmac_f32_e32 v4, v52, v6
	v_mul_f32_e32 v6, v53, v6
	v_fma_f32 v6, v52, v7, -v6
	v_cvt_f64_f32_e32 v[4:5], v4
	v_cvt_f64_f32_e32 v[6:7], v6
	v_cvt_f32_f64_e32 v0, v[0:1]
	v_cvt_f32_f64_e32 v1, v[2:3]
	v_mul_f64 v[2:3], v[4:5], s[0:1]
	v_mul_f64 v[4:5], v[6:7], s[0:1]
	v_mov_b32_e32 v7, s2
	v_add_co_u32_e32 v6, vcc, s3, v8
	v_addc_co_u32_e32 v7, vcc, v9, v7, vcc
	global_store_dwordx2 v[6:7], v[0:1], off
	v_cvt_f32_f64_e32 v0, v[2:3]
	v_cvt_f32_f64_e32 v1, v[4:5]
	v_mov_b32_e32 v3, s2
	v_add_co_u32_e32 v2, vcc, s3, v6
	v_addc_co_u32_e32 v3, vcc, v7, v3, vcc
	global_store_dwordx2 v[2:3], v[0:1], off
.LBB0_18:
	s_endpgm
	.section	.rodata,"a",@progbits
	.p2align	6, 0x0
	.amdhsa_kernel bluestein_single_fwd_len588_dim1_sp_op_CI_CI
		.amdhsa_group_segment_fixed_size 14112
		.amdhsa_private_segment_fixed_size 0
		.amdhsa_kernarg_size 104
		.amdhsa_user_sgpr_count 6
		.amdhsa_user_sgpr_private_segment_buffer 1
		.amdhsa_user_sgpr_dispatch_ptr 0
		.amdhsa_user_sgpr_queue_ptr 0
		.amdhsa_user_sgpr_kernarg_segment_ptr 1
		.amdhsa_user_sgpr_dispatch_id 0
		.amdhsa_user_sgpr_flat_scratch_init 0
		.amdhsa_user_sgpr_private_segment_size 0
		.amdhsa_uses_dynamic_stack 0
		.amdhsa_system_sgpr_private_segment_wavefront_offset 0
		.amdhsa_system_sgpr_workgroup_id_x 1
		.amdhsa_system_sgpr_workgroup_id_y 0
		.amdhsa_system_sgpr_workgroup_id_z 0
		.amdhsa_system_sgpr_workgroup_info 0
		.amdhsa_system_vgpr_workitem_id 0
		.amdhsa_next_free_vgpr 99
		.amdhsa_next_free_sgpr 20
		.amdhsa_reserve_vcc 1
		.amdhsa_reserve_flat_scratch 0
		.amdhsa_float_round_mode_32 0
		.amdhsa_float_round_mode_16_64 0
		.amdhsa_float_denorm_mode_32 3
		.amdhsa_float_denorm_mode_16_64 3
		.amdhsa_dx10_clamp 1
		.amdhsa_ieee_mode 1
		.amdhsa_fp16_overflow 0
		.amdhsa_exception_fp_ieee_invalid_op 0
		.amdhsa_exception_fp_denorm_src 0
		.amdhsa_exception_fp_ieee_div_zero 0
		.amdhsa_exception_fp_ieee_overflow 0
		.amdhsa_exception_fp_ieee_underflow 0
		.amdhsa_exception_fp_ieee_inexact 0
		.amdhsa_exception_int_div_zero 0
	.end_amdhsa_kernel
	.text
.Lfunc_end0:
	.size	bluestein_single_fwd_len588_dim1_sp_op_CI_CI, .Lfunc_end0-bluestein_single_fwd_len588_dim1_sp_op_CI_CI
                                        ; -- End function
	.section	.AMDGPU.csdata,"",@progbits
; Kernel info:
; codeLenInByte = 6632
; NumSgprs: 24
; NumVgprs: 99
; ScratchSize: 0
; MemoryBound: 0
; FloatMode: 240
; IeeeMode: 1
; LDSByteSize: 14112 bytes/workgroup (compile time only)
; SGPRBlocks: 2
; VGPRBlocks: 24
; NumSGPRsForWavesPerEU: 24
; NumVGPRsForWavesPerEU: 99
; Occupancy: 2
; WaveLimiterHint : 1
; COMPUTE_PGM_RSRC2:SCRATCH_EN: 0
; COMPUTE_PGM_RSRC2:USER_SGPR: 6
; COMPUTE_PGM_RSRC2:TRAP_HANDLER: 0
; COMPUTE_PGM_RSRC2:TGID_X_EN: 1
; COMPUTE_PGM_RSRC2:TGID_Y_EN: 0
; COMPUTE_PGM_RSRC2:TGID_Z_EN: 0
; COMPUTE_PGM_RSRC2:TIDIG_COMP_CNT: 0
	.type	__hip_cuid_a7b491eafa51102,@object ; @__hip_cuid_a7b491eafa51102
	.section	.bss,"aw",@nobits
	.globl	__hip_cuid_a7b491eafa51102
__hip_cuid_a7b491eafa51102:
	.byte	0                               ; 0x0
	.size	__hip_cuid_a7b491eafa51102, 1

	.ident	"AMD clang version 19.0.0git (https://github.com/RadeonOpenCompute/llvm-project roc-6.4.0 25133 c7fe45cf4b819c5991fe208aaa96edf142730f1d)"
	.section	".note.GNU-stack","",@progbits
	.addrsig
	.addrsig_sym __hip_cuid_a7b491eafa51102
	.amdgpu_metadata
---
amdhsa.kernels:
  - .args:
      - .actual_access:  read_only
        .address_space:  global
        .offset:         0
        .size:           8
        .value_kind:     global_buffer
      - .actual_access:  read_only
        .address_space:  global
        .offset:         8
        .size:           8
        .value_kind:     global_buffer
      - .actual_access:  read_only
        .address_space:  global
        .offset:         16
        .size:           8
        .value_kind:     global_buffer
      - .actual_access:  read_only
        .address_space:  global
        .offset:         24
        .size:           8
        .value_kind:     global_buffer
      - .actual_access:  read_only
        .address_space:  global
        .offset:         32
        .size:           8
        .value_kind:     global_buffer
      - .offset:         40
        .size:           8
        .value_kind:     by_value
      - .address_space:  global
        .offset:         48
        .size:           8
        .value_kind:     global_buffer
      - .address_space:  global
        .offset:         56
        .size:           8
        .value_kind:     global_buffer
      - .address_space:  global
        .offset:         64
        .size:           8
        .value_kind:     global_buffer
      - .address_space:  global
        .offset:         72
        .size:           8
        .value_kind:     global_buffer
      - .offset:         80
        .size:           4
        .value_kind:     by_value
      - .address_space:  global
        .offset:         88
        .size:           8
        .value_kind:     global_buffer
      - .address_space:  global
        .offset:         96
        .size:           8
        .value_kind:     global_buffer
    .group_segment_fixed_size: 14112
    .kernarg_segment_align: 8
    .kernarg_segment_size: 104
    .language:       OpenCL C
    .language_version:
      - 2
      - 0
    .max_flat_workgroup_size: 252
    .name:           bluestein_single_fwd_len588_dim1_sp_op_CI_CI
    .private_segment_fixed_size: 0
    .sgpr_count:     24
    .sgpr_spill_count: 0
    .symbol:         bluestein_single_fwd_len588_dim1_sp_op_CI_CI.kd
    .uniform_work_group_size: 1
    .uses_dynamic_stack: false
    .vgpr_count:     99
    .vgpr_spill_count: 0
    .wavefront_size: 64
amdhsa.target:   amdgcn-amd-amdhsa--gfx906
amdhsa.version:
  - 1
  - 2
...

	.end_amdgpu_metadata
